;; amdgpu-corpus repo=llvm/llvm-project kind=harvested arch=n/a opt=n/a
// NOTE: Assertions have been autogenerated by utils/update_mc_test_checks.py UTC_ARGS: --unique --sort --version 6
// RUN: not llvm-mc -triple=amdgcn -mcpu=tonga %s -filetype=null 2>&1 | FileCheck %s --implicit-check-not=error:
// RUN: not llvm-mc -triple=amdgcn -mcpu=gfx900 %s -filetype=null 2>&1 | FileCheck %s --implicit-check-not=error:
// RUN: not llvm-mc -triple=amdgcn -mcpu=gfx1010 %s -filetype=null 2>&1 | FileCheck %s --implicit-check-not=error:

v_interp_p1_f32_e64 v5, 0.5, attr0.w
// CHECK: :[[@LINE-1]]:25: error: invalid operand for instruction

v_interp_p1_f32_e64 v5, s1, attr0.w
// CHECK: :[[@LINE-1]]:25: error: invalid operand for instruction

v_interp_p1ll_f16 v5, 0.5, attr0.w
// CHECK: :[[@LINE-1]]:23: error: invalid operand for instruction

v_interp_p1ll_f16 v5, s1, attr0.w
// CHECK: :[[@LINE-1]]:23: error: invalid operand for instruction

v_interp_p1lv_f16 v5, 0.5, attr0.w, v3
// CHECK: :[[@LINE-1]]:23: error: invalid operand for instruction

v_interp_p1lv_f16 v5, s1, attr0.w, v3
// CHECK: :[[@LINE-1]]:23: error: invalid operand for instruction

v_interp_p1lv_f16 v5, v1, attr31.w, 0.5
// CHECK: :[[@LINE-1]]:37: error: invalid operand for instruction

v_interp_p1lv_f16 v5, v1, attr31.w, s1
// CHECK: :[[@LINE-1]]:37: error: invalid operand for instruction

v_interp_p2_f16 v5, 0.5, attr0.w, v3
// CHECK: :[[@LINE-1]]:21: error: invalid operand for instruction

v_interp_p2_f16 v5, s1, attr0.w, v3
// CHECK: :[[@LINE-1]]:21: error: invalid operand for instruction

v_interp_p2_f16 v5, v1, attr1.w, 0.5
// CHECK: :[[@LINE-1]]:34: error: invalid operand for instruction

v_interp_p2_f16 v5, v1, attr1.w, s1
// CHECK: :[[@LINE-1]]:34: error: invalid operand for instruction

v_interp_p2_f32_e64 v5, 0.5, attr31.w
// CHECK: :[[@LINE-1]]:25: error: invalid operand for instruction

v_interp_p2_f32_e64 v5, s1, attr31.w
// CHECK: :[[@LINE-1]]:25: error: invalid operand for instruction
